;; amdgpu-corpus repo=ROCm/rocFFT kind=compiled arch=gfx906 opt=O3
	.text
	.amdgcn_target "amdgcn-amd-amdhsa--gfx906"
	.amdhsa_code_object_version 6
	.protected	fft_rtc_fwd_len704_factors_2_2_2_2_11_2_2_wgs_176_tpt_88_halfLds_dp_ip_CI_unitstride_sbrr_R2C_dirReg ; -- Begin function fft_rtc_fwd_len704_factors_2_2_2_2_11_2_2_wgs_176_tpt_88_halfLds_dp_ip_CI_unitstride_sbrr_R2C_dirReg
	.globl	fft_rtc_fwd_len704_factors_2_2_2_2_11_2_2_wgs_176_tpt_88_halfLds_dp_ip_CI_unitstride_sbrr_R2C_dirReg
	.p2align	8
	.type	fft_rtc_fwd_len704_factors_2_2_2_2_11_2_2_wgs_176_tpt_88_halfLds_dp_ip_CI_unitstride_sbrr_R2C_dirReg,@function
fft_rtc_fwd_len704_factors_2_2_2_2_11_2_2_wgs_176_tpt_88_halfLds_dp_ip_CI_unitstride_sbrr_R2C_dirReg: ; @fft_rtc_fwd_len704_factors_2_2_2_2_11_2_2_wgs_176_tpt_88_halfLds_dp_ip_CI_unitstride_sbrr_R2C_dirReg
; %bb.0:
	s_load_dwordx2 s[12:13], s[4:5], 0x50
	s_load_dwordx4 s[8:11], s[4:5], 0x0
	s_load_dwordx2 s[2:3], s[4:5], 0x18
	v_mul_u32_u24_e32 v1, 0x2e9, v0
	v_lshrrev_b32_e32 v9, 16, v1
	v_mov_b32_e32 v3, 0
	s_waitcnt lgkmcnt(0)
	v_cmp_lt_u64_e64 s[0:1], s[10:11], 2
	v_mov_b32_e32 v1, 0
	v_lshl_add_u32 v5, s6, 1, v9
	v_mov_b32_e32 v6, v3
	s_and_b64 vcc, exec, s[0:1]
	v_mov_b32_e32 v2, 0
	s_cbranch_vccnz .LBB0_8
; %bb.1:
	s_load_dwordx2 s[0:1], s[4:5], 0x10
	s_add_u32 s6, s2, 8
	s_addc_u32 s7, s3, 0
	v_mov_b32_e32 v1, 0
	v_mov_b32_e32 v2, 0
	s_waitcnt lgkmcnt(0)
	s_add_u32 s14, s0, 8
	s_addc_u32 s15, s1, 0
	s_mov_b64 s[16:17], 1
.LBB0_2:                                ; =>This Inner Loop Header: Depth=1
	s_load_dwordx2 s[18:19], s[14:15], 0x0
                                        ; implicit-def: $vgpr7_vgpr8
	s_waitcnt lgkmcnt(0)
	v_or_b32_e32 v4, s19, v6
	v_cmp_ne_u64_e32 vcc, 0, v[3:4]
	s_and_saveexec_b64 s[0:1], vcc
	s_xor_b64 s[20:21], exec, s[0:1]
	s_cbranch_execz .LBB0_4
; %bb.3:                                ;   in Loop: Header=BB0_2 Depth=1
	v_cvt_f32_u32_e32 v4, s18
	v_cvt_f32_u32_e32 v7, s19
	s_sub_u32 s0, 0, s18
	s_subb_u32 s1, 0, s19
	v_mac_f32_e32 v4, 0x4f800000, v7
	v_rcp_f32_e32 v4, v4
	v_mul_f32_e32 v4, 0x5f7ffffc, v4
	v_mul_f32_e32 v7, 0x2f800000, v4
	v_trunc_f32_e32 v7, v7
	v_mac_f32_e32 v4, 0xcf800000, v7
	v_cvt_u32_f32_e32 v7, v7
	v_cvt_u32_f32_e32 v4, v4
	v_mul_lo_u32 v8, s0, v7
	v_mul_hi_u32 v10, s0, v4
	v_mul_lo_u32 v12, s1, v4
	v_mul_lo_u32 v11, s0, v4
	v_add_u32_e32 v8, v10, v8
	v_add_u32_e32 v8, v8, v12
	v_mul_hi_u32 v10, v4, v11
	v_mul_lo_u32 v12, v4, v8
	v_mul_hi_u32 v14, v4, v8
	v_mul_hi_u32 v13, v7, v11
	v_mul_lo_u32 v11, v7, v11
	v_mul_hi_u32 v15, v7, v8
	v_add_co_u32_e32 v10, vcc, v10, v12
	v_addc_co_u32_e32 v12, vcc, 0, v14, vcc
	v_mul_lo_u32 v8, v7, v8
	v_add_co_u32_e32 v10, vcc, v10, v11
	v_addc_co_u32_e32 v10, vcc, v12, v13, vcc
	v_addc_co_u32_e32 v11, vcc, 0, v15, vcc
	v_add_co_u32_e32 v8, vcc, v10, v8
	v_addc_co_u32_e32 v10, vcc, 0, v11, vcc
	v_add_co_u32_e32 v4, vcc, v4, v8
	v_addc_co_u32_e32 v7, vcc, v7, v10, vcc
	v_mul_lo_u32 v8, s0, v7
	v_mul_hi_u32 v10, s0, v4
	v_mul_lo_u32 v11, s1, v4
	v_mul_lo_u32 v12, s0, v4
	v_add_u32_e32 v8, v10, v8
	v_add_u32_e32 v8, v8, v11
	v_mul_lo_u32 v13, v4, v8
	v_mul_hi_u32 v14, v4, v12
	v_mul_hi_u32 v15, v4, v8
	;; [unrolled: 1-line block ×3, first 2 shown]
	v_mul_lo_u32 v12, v7, v12
	v_mul_hi_u32 v10, v7, v8
	v_add_co_u32_e32 v13, vcc, v14, v13
	v_addc_co_u32_e32 v14, vcc, 0, v15, vcc
	v_mul_lo_u32 v8, v7, v8
	v_add_co_u32_e32 v12, vcc, v13, v12
	v_addc_co_u32_e32 v11, vcc, v14, v11, vcc
	v_addc_co_u32_e32 v10, vcc, 0, v10, vcc
	v_add_co_u32_e32 v8, vcc, v11, v8
	v_addc_co_u32_e32 v10, vcc, 0, v10, vcc
	v_add_co_u32_e32 v4, vcc, v4, v8
	v_addc_co_u32_e32 v10, vcc, v7, v10, vcc
	v_mad_u64_u32 v[7:8], s[0:1], v5, v10, 0
	v_mul_hi_u32 v11, v5, v4
	v_add_co_u32_e32 v12, vcc, v11, v7
	v_addc_co_u32_e32 v13, vcc, 0, v8, vcc
	v_mad_u64_u32 v[7:8], s[0:1], v6, v4, 0
	v_mad_u64_u32 v[10:11], s[0:1], v6, v10, 0
	v_add_co_u32_e32 v4, vcc, v12, v7
	v_addc_co_u32_e32 v4, vcc, v13, v8, vcc
	v_addc_co_u32_e32 v7, vcc, 0, v11, vcc
	v_add_co_u32_e32 v4, vcc, v4, v10
	v_addc_co_u32_e32 v10, vcc, 0, v7, vcc
	v_mul_lo_u32 v11, s19, v4
	v_mul_lo_u32 v12, s18, v10
	v_mad_u64_u32 v[7:8], s[0:1], s18, v4, 0
	v_add3_u32 v8, v8, v12, v11
	v_sub_u32_e32 v11, v6, v8
	v_mov_b32_e32 v12, s19
	v_sub_co_u32_e32 v7, vcc, v5, v7
	v_subb_co_u32_e64 v11, s[0:1], v11, v12, vcc
	v_subrev_co_u32_e64 v12, s[0:1], s18, v7
	v_subbrev_co_u32_e64 v11, s[0:1], 0, v11, s[0:1]
	v_cmp_le_u32_e64 s[0:1], s19, v11
	v_cndmask_b32_e64 v13, 0, -1, s[0:1]
	v_cmp_le_u32_e64 s[0:1], s18, v12
	v_cndmask_b32_e64 v12, 0, -1, s[0:1]
	v_cmp_eq_u32_e64 s[0:1], s19, v11
	v_cndmask_b32_e64 v11, v13, v12, s[0:1]
	v_add_co_u32_e64 v12, s[0:1], 2, v4
	v_addc_co_u32_e64 v13, s[0:1], 0, v10, s[0:1]
	v_add_co_u32_e64 v14, s[0:1], 1, v4
	v_addc_co_u32_e64 v15, s[0:1], 0, v10, s[0:1]
	v_subb_co_u32_e32 v8, vcc, v6, v8, vcc
	v_cmp_ne_u32_e64 s[0:1], 0, v11
	v_cmp_le_u32_e32 vcc, s19, v8
	v_cndmask_b32_e64 v11, v15, v13, s[0:1]
	v_cndmask_b32_e64 v13, 0, -1, vcc
	v_cmp_le_u32_e32 vcc, s18, v7
	v_cndmask_b32_e64 v7, 0, -1, vcc
	v_cmp_eq_u32_e32 vcc, s19, v8
	v_cndmask_b32_e32 v7, v13, v7, vcc
	v_cmp_ne_u32_e32 vcc, 0, v7
	v_cndmask_b32_e64 v7, v14, v12, s[0:1]
	v_cndmask_b32_e32 v8, v10, v11, vcc
	v_cndmask_b32_e32 v7, v4, v7, vcc
.LBB0_4:                                ;   in Loop: Header=BB0_2 Depth=1
	s_andn2_saveexec_b64 s[0:1], s[20:21]
	s_cbranch_execz .LBB0_6
; %bb.5:                                ;   in Loop: Header=BB0_2 Depth=1
	v_cvt_f32_u32_e32 v4, s18
	s_sub_i32 s20, 0, s18
	v_rcp_iflag_f32_e32 v4, v4
	v_mul_f32_e32 v4, 0x4f7ffffe, v4
	v_cvt_u32_f32_e32 v4, v4
	v_mul_lo_u32 v7, s20, v4
	v_mul_hi_u32 v7, v4, v7
	v_add_u32_e32 v4, v4, v7
	v_mul_hi_u32 v4, v5, v4
	v_mul_lo_u32 v7, v4, s18
	v_add_u32_e32 v8, 1, v4
	v_sub_u32_e32 v7, v5, v7
	v_subrev_u32_e32 v10, s18, v7
	v_cmp_le_u32_e32 vcc, s18, v7
	v_cndmask_b32_e32 v7, v7, v10, vcc
	v_cndmask_b32_e32 v4, v4, v8, vcc
	v_add_u32_e32 v8, 1, v4
	v_cmp_le_u32_e32 vcc, s18, v7
	v_cndmask_b32_e32 v7, v4, v8, vcc
	v_mov_b32_e32 v8, v3
.LBB0_6:                                ;   in Loop: Header=BB0_2 Depth=1
	s_or_b64 exec, exec, s[0:1]
	v_mul_lo_u32 v4, v8, s18
	v_mul_lo_u32 v12, v7, s19
	v_mad_u64_u32 v[10:11], s[0:1], v7, s18, 0
	s_load_dwordx2 s[0:1], s[6:7], 0x0
	s_add_u32 s16, s16, 1
	v_add3_u32 v4, v11, v12, v4
	v_sub_co_u32_e32 v5, vcc, v5, v10
	v_subb_co_u32_e32 v4, vcc, v6, v4, vcc
	s_waitcnt lgkmcnt(0)
	v_mul_lo_u32 v4, s0, v4
	v_mul_lo_u32 v6, s1, v5
	v_mad_u64_u32 v[1:2], s[0:1], s0, v5, v[1:2]
	s_addc_u32 s17, s17, 0
	s_add_u32 s6, s6, 8
	v_add3_u32 v2, v6, v2, v4
	v_mov_b32_e32 v4, s10
	v_mov_b32_e32 v5, s11
	s_addc_u32 s7, s7, 0
	v_cmp_ge_u64_e32 vcc, s[16:17], v[4:5]
	s_add_u32 s14, s14, 8
	s_addc_u32 s15, s15, 0
	s_cbranch_vccnz .LBB0_9
; %bb.7:                                ;   in Loop: Header=BB0_2 Depth=1
	v_mov_b32_e32 v5, v7
	v_mov_b32_e32 v6, v8
	s_branch .LBB0_2
.LBB0_8:
	v_mov_b32_e32 v8, v6
	v_mov_b32_e32 v7, v5
.LBB0_9:
	s_lshl_b64 s[0:1], s[10:11], 3
	s_add_u32 s0, s2, s0
	s_addc_u32 s1, s3, s1
	s_load_dwordx2 s[2:3], s[0:1], 0x0
	s_load_dwordx2 s[6:7], s[4:5], 0x20
	v_and_b32_e32 v5, 1, v9
	v_cmp_eq_u32_e32 vcc, 1, v5
                                        ; implicit-def: $vgpr52
                                        ; implicit-def: $vgpr50
                                        ; implicit-def: $vgpr48
	s_waitcnt lgkmcnt(0)
	v_mul_lo_u32 v3, s2, v8
	v_mul_lo_u32 v4, s3, v7
	v_mad_u64_u32 v[1:2], s[0:1], s2, v7, v[1:2]
	s_mov_b32 s0, 0x2e8ba2f
	v_cmp_le_u64_e64 s[2:3], s[6:7], v[7:8]
	v_add3_u32 v2, v4, v2, v3
	v_mul_hi_u32 v4, v0, s0
	v_cmp_gt_u64_e64 s[0:1], s[6:7], v[7:8]
	v_mov_b32_e32 v3, 0x2c1
	v_mul_u32_u24_e32 v4, 0x58, v4
	v_sub_u32_e32 v44, v0, v4
	s_and_saveexec_b64 s[4:5], s[2:3]
	s_xor_b64 s[2:3], exec, s[4:5]
; %bb.10:
	v_add_u32_e32 v52, 0x58, v44
	v_add_u32_e32 v50, 0xb0, v44
	;; [unrolled: 1-line block ×3, first 2 shown]
; %bb.11:
	s_or_saveexec_b64 s[2:3], s[2:3]
	v_cndmask_b32_e32 v0, 0, v3, vcc
	v_lshlrev_b64 v[46:47], 4, v[1:2]
	v_lshlrev_b32_e32 v49, 4, v0
	v_lshlrev_b32_e32 v103, 4, v44
	s_xor_b64 exec, exec, s[2:3]
	s_cbranch_execz .LBB0_13
; %bb.12:
	v_mov_b32_e32 v45, 0
	v_mov_b32_e32 v0, s13
	v_add_co_u32_e32 v2, vcc, s12, v46
	v_addc_co_u32_e32 v3, vcc, v0, v47, vcc
	v_lshlrev_b64 v[0:1], 4, v[44:45]
	s_movk_i32 s4, 0x1000
	v_add_co_u32_e32 v23, vcc, v2, v0
	v_addc_co_u32_e32 v24, vcc, v3, v1, vcc
	v_add_co_u32_e32 v25, vcc, s4, v23
	v_addc_co_u32_e32 v26, vcc, 0, v24, vcc
	;; [unrolled: 2-line block ×3, first 2 shown]
	global_load_dwordx4 v[0:3], v[23:24], off
	global_load_dwordx4 v[4:7], v[23:24], off offset:1408
	global_load_dwordx4 v[8:11], v[23:24], off offset:2816
	global_load_dwordx4 v[12:15], v[25:26], off offset:128
	global_load_dwordx4 v[16:19], v[25:26], off offset:1536
	s_nop 0
	global_load_dwordx4 v[20:23], v[25:26], off offset:2944
	s_nop 0
	global_load_dwordx4 v[24:27], v[32:33], off offset:256
	global_load_dwordx4 v[28:31], v[32:33], off offset:1664
	v_add3_u32 v32, 0, v49, v103
	v_add_u32_e32 v52, 0x58, v44
	v_add_u32_e32 v50, 0xb0, v44
	;; [unrolled: 1-line block ×3, first 2 shown]
	s_waitcnt vmcnt(7)
	ds_write_b128 v32, v[0:3]
	s_waitcnt vmcnt(6)
	ds_write_b128 v32, v[4:7] offset:1408
	s_waitcnt vmcnt(5)
	ds_write_b128 v32, v[8:11] offset:2816
	;; [unrolled: 2-line block ×7, first 2 shown]
.LBB0_13:
	s_or_b64 exec, exec, s[2:3]
	v_add_u32_e32 v102, 0, v49
	v_add3_u32 v104, 0, v103, v49
	s_waitcnt lgkmcnt(0)
	s_barrier
	v_add_u32_e32 v101, v102, v103
	ds_read_b128 v[0:3], v104 offset:5632
	ds_read_b128 v[4:7], v101
	ds_read_b128 v[8:11], v104 offset:1408
	ds_read_b128 v[12:15], v104 offset:7040
	;; [unrolled: 1-line block ×6, first 2 shown]
	s_waitcnt lgkmcnt(6)
	v_add_f64 v[0:1], v[4:5], -v[0:1]
	v_add_f64 v[2:3], v[6:7], -v[2:3]
	s_waitcnt lgkmcnt(4)
	v_add_f64 v[12:13], v[8:9], -v[12:13]
	v_add_f64 v[14:15], v[10:11], -v[14:15]
	;; [unrolled: 3-line block ×4, first 2 shown]
	v_fma_f64 v[4:5], v[4:5], 2.0, -v[0:1]
	v_fma_f64 v[6:7], v[6:7], 2.0, -v[2:3]
	v_add_u32_e32 v32, v104, v103
	v_fma_f64 v[8:9], v[8:9], 2.0, -v[12:13]
	v_fma_f64 v[10:11], v[10:11], 2.0, -v[14:15]
	s_barrier
	ds_write_b128 v32, v[0:3] offset:16
	v_fma_f64 v[0:1], v[16:17], 2.0, -v[24:25]
	v_fma_f64 v[2:3], v[18:19], 2.0, -v[26:27]
	ds_write_b128 v32, v[4:7]
	v_fma_f64 v[4:5], v[20:21], 2.0, -v[28:29]
	v_fma_f64 v[6:7], v[22:23], 2.0, -v[30:31]
	v_lshl_add_u32 v16, v52, 5, v102
	ds_write_b128 v16, v[8:11]
	ds_write_b128 v16, v[12:15] offset:16
	v_lshl_add_u32 v8, v50, 5, v102
	v_and_b32_e32 v10, 1, v44
	ds_write_b128 v8, v[0:3]
	ds_write_b128 v8, v[24:27] offset:16
	v_lshl_add_u32 v9, v48, 5, v102
	v_lshlrev_b32_e32 v0, 4, v10
	ds_write_b128 v9, v[4:7]
	ds_write_b128 v9, v[28:31] offset:16
	s_waitcnt lgkmcnt(0)
	s_barrier
	global_load_dwordx4 v[4:7], v0, s[8:9]
	s_movk_i32 s2, 0xfc
	v_lshlrev_b32_e32 v0, 1, v44
	s_movk_i32 s3, 0x1fc
	v_lshlrev_b32_e32 v1, 1, v52
	;; [unrolled: 2-line block ×3, first 2 shown]
	v_lshlrev_b32_e32 v3, 1, v48
	v_lshlrev_b32_e32 v11, 4, v52
	;; [unrolled: 1-line block ×4, first 2 shown]
	v_and_or_b32 v14, v0, s2, v10
	v_and_or_b32 v15, v1, s3, v10
	;; [unrolled: 1-line block ×4, first 2 shown]
	v_sub_u32_e32 v107, v16, v11
	v_sub_u32_e32 v106, v8, v12
	;; [unrolled: 1-line block ×3, first 2 shown]
	v_lshl_add_u32 v63, v14, 4, v102
	v_lshl_add_u32 v64, v15, 4, v102
	;; [unrolled: 1-line block ×4, first 2 shown]
	ds_read_b128 v[8:11], v104 offset:7040
	ds_read_b128 v[12:15], v104 offset:8448
	;; [unrolled: 1-line block ×3, first 2 shown]
	ds_read_b128 v[20:23], v101
	ds_read_b128 v[24:27], v104 offset:9856
	ds_read_b128 v[28:31], v107
	ds_read_b128 v[32:35], v106
	;; [unrolled: 1-line block ×3, first 2 shown]
	v_and_b32_e32 v45, 3, v44
	v_lshlrev_b32_e32 v51, 4, v45
	s_waitcnt vmcnt(0) lgkmcnt(0)
	s_barrier
	s_movk_i32 s2, 0xf8
	s_movk_i32 s3, 0x1f8
	;; [unrolled: 1-line block ×3, first 2 shown]
	v_cmp_gt_u32_e32 vcc, 64, v44
	v_mul_f64 v[40:41], v[18:19], v[6:7]
	v_mul_f64 v[42:43], v[16:17], v[6:7]
	;; [unrolled: 1-line block ×8, first 2 shown]
	v_fma_f64 v[16:17], v[16:17], v[4:5], -v[40:41]
	v_fma_f64 v[18:19], v[18:19], v[4:5], v[42:43]
	v_fma_f64 v[8:9], v[8:9], v[4:5], -v[53:54]
	v_fma_f64 v[10:11], v[10:11], v[4:5], v[55:56]
	;; [unrolled: 2-line block ×4, first 2 shown]
	v_add_f64 v[4:5], v[20:21], -v[16:17]
	v_add_f64 v[6:7], v[22:23], -v[18:19]
	;; [unrolled: 1-line block ×8, first 2 shown]
	v_fma_f64 v[20:21], v[20:21], 2.0, -v[4:5]
	v_fma_f64 v[22:23], v[22:23], 2.0, -v[6:7]
	;; [unrolled: 1-line block ×8, first 2 shown]
	ds_write_b128 v63, v[4:7] offset:32
	ds_write_b128 v63, v[20:23]
	ds_write_b128 v64, v[24:27]
	ds_write_b128 v64, v[8:11] offset:32
	ds_write_b128 v65, v[28:31]
	ds_write_b128 v65, v[12:15] offset:32
	;; [unrolled: 2-line block ×3, first 2 shown]
	s_waitcnt lgkmcnt(0)
	s_barrier
	global_load_dwordx4 v[4:7], v51, s[8:9] offset:32
	v_and_or_b32 v8, v0, s2, v45
	v_and_or_b32 v9, v1, s3, v45
	;; [unrolled: 1-line block ×4, first 2 shown]
	v_lshl_add_u32 v63, v8, 4, v102
	v_lshl_add_u32 v64, v9, 4, v102
	;; [unrolled: 1-line block ×4, first 2 shown]
	ds_read_b128 v[8:11], v104 offset:7040
	ds_read_b128 v[12:15], v104 offset:8448
	;; [unrolled: 1-line block ×3, first 2 shown]
	ds_read_b128 v[20:23], v101
	ds_read_b128 v[24:27], v104 offset:9856
	ds_read_b128 v[28:31], v107
	ds_read_b128 v[32:35], v106
	;; [unrolled: 1-line block ×3, first 2 shown]
	v_and_b32_e32 v51, 7, v44
	v_lshlrev_b32_e32 v45, 4, v51
	s_waitcnt vmcnt(0) lgkmcnt(0)
	s_barrier
	s_movk_i32 s2, 0xf0
	s_movk_i32 s3, 0x1f0
	;; [unrolled: 1-line block ×3, first 2 shown]
	v_and_or_b32 v0, v0, s2, v51
	v_and_or_b32 v1, v1, s3, v51
	;; [unrolled: 1-line block ×4, first 2 shown]
	v_lshl_add_u32 v51, v1, 4, v102
	v_mul_f64 v[40:41], v[18:19], v[6:7]
	v_mul_f64 v[42:43], v[16:17], v[6:7]
	;; [unrolled: 1-line block ×8, first 2 shown]
	v_fma_f64 v[16:17], v[16:17], v[4:5], -v[40:41]
	v_fma_f64 v[18:19], v[18:19], v[4:5], v[42:43]
	v_fma_f64 v[8:9], v[8:9], v[4:5], -v[53:54]
	v_fma_f64 v[10:11], v[10:11], v[4:5], v[55:56]
	;; [unrolled: 2-line block ×4, first 2 shown]
	v_add_f64 v[4:5], v[20:21], -v[16:17]
	v_add_f64 v[6:7], v[22:23], -v[18:19]
	;; [unrolled: 1-line block ×8, first 2 shown]
	v_fma_f64 v[20:21], v[20:21], 2.0, -v[4:5]
	v_fma_f64 v[22:23], v[22:23], 2.0, -v[6:7]
	;; [unrolled: 1-line block ×8, first 2 shown]
	ds_write_b128 v63, v[4:7] offset:64
	ds_write_b128 v63, v[20:23]
	ds_write_b128 v64, v[24:27]
	ds_write_b128 v64, v[8:11] offset:64
	ds_write_b128 v65, v[28:31]
	ds_write_b128 v65, v[12:15] offset:64
	;; [unrolled: 2-line block ×3, first 2 shown]
	s_waitcnt lgkmcnt(0)
	s_barrier
	global_load_dwordx4 v[4:7], v45, s[8:9] offset:96
	v_lshl_add_u32 v45, v0, 4, v102
	v_lshl_add_u32 v59, v2, 4, v102
	;; [unrolled: 1-line block ×3, first 2 shown]
	ds_read_b128 v[0:3], v104 offset:7040
	ds_read_b128 v[8:11], v104 offset:8448
	;; [unrolled: 1-line block ×3, first 2 shown]
	ds_read_b128 v[16:19], v101
	ds_read_b128 v[20:23], v104 offset:9856
	ds_read_b128 v[28:31], v107
	ds_read_b128 v[32:35], v106
	;; [unrolled: 1-line block ×3, first 2 shown]
	s_waitcnt vmcnt(0) lgkmcnt(0)
	s_barrier
	v_mul_f64 v[24:25], v[14:15], v[6:7]
	v_mul_f64 v[26:27], v[12:13], v[6:7]
	;; [unrolled: 1-line block ×8, first 2 shown]
	v_fma_f64 v[12:13], v[12:13], v[4:5], -v[24:25]
	v_fma_f64 v[14:15], v[14:15], v[4:5], v[26:27]
	v_fma_f64 v[0:1], v[0:1], v[4:5], -v[40:41]
	v_fma_f64 v[2:3], v[2:3], v[4:5], v[42:43]
	;; [unrolled: 2-line block ×4, first 2 shown]
	v_add_f64 v[4:5], v[16:17], -v[12:13]
	v_add_f64 v[6:7], v[18:19], -v[14:15]
	;; [unrolled: 1-line block ×8, first 2 shown]
	v_fma_f64 v[0:1], v[16:17], 2.0, -v[4:5]
	v_fma_f64 v[2:3], v[18:19], 2.0, -v[6:7]
	;; [unrolled: 1-line block ×8, first 2 shown]
	ds_write_b128 v45, v[4:7] offset:128
	ds_write_b128 v45, v[0:3]
	ds_write_b128 v51, v[12:15]
	ds_write_b128 v51, v[8:11] offset:128
	ds_write_b128 v59, v[16:19]
	ds_write_b128 v59, v[20:23] offset:128
	ds_write_b128 v60, v[28:31]
	ds_write_b128 v60, v[24:27] offset:128
	s_waitcnt lgkmcnt(0)
	s_barrier
	s_waitcnt lgkmcnt(0)
                                        ; implicit-def: $vgpr42_vgpr43
                                        ; implicit-def: $vgpr38_vgpr39
                                        ; implicit-def: $vgpr34_vgpr35
	s_and_saveexec_b64 s[2:3], vcc
	s_cbranch_execz .LBB0_15
; %bb.14:
	ds_read_b128 v[0:3], v101
	ds_read_b128 v[4:7], v104 offset:1024
	ds_read_b128 v[12:15], v104 offset:2048
	;; [unrolled: 1-line block ×10, first 2 shown]
.LBB0_15:
	s_or_b64 exec, exec, s[2:3]
	s_waitcnt lgkmcnt(0)
	s_barrier
	s_and_saveexec_b64 s[2:3], vcc
	s_cbranch_execz .LBB0_17
; %bb.16:
	v_and_b32_e32 v45, 15, v44
	v_mul_u32_u24_e32 v51, 10, v45
	v_lshlrev_b32_e32 v51, 4, v51
	global_load_dwordx4 v[55:58], v51, s[8:9] offset:288
	global_load_dwordx4 v[59:62], v51, s[8:9] offset:304
	global_load_dwordx4 v[63:66], v51, s[8:9] offset:272
	global_load_dwordx4 v[67:70], v51, s[8:9] offset:320
	global_load_dwordx4 v[71:74], v51, s[8:9] offset:256
	global_load_dwordx4 v[75:78], v51, s[8:9] offset:336
	global_load_dwordx4 v[79:82], v51, s[8:9] offset:240
	global_load_dwordx4 v[83:86], v51, s[8:9] offset:224
	global_load_dwordx4 v[87:90], v51, s[8:9] offset:368
	global_load_dwordx4 v[93:96], v51, s[8:9] offset:352
	s_mov_b32 s4, 0x9bcd5057
	s_mov_b32 s6, 0xfd768dbf
	;; [unrolled: 1-line block ×30, first 2 shown]
	s_waitcnt vmcnt(9)
	v_mul_f64 v[53:54], v[20:21], v[57:58]
	s_waitcnt vmcnt(8)
	v_mul_f64 v[91:92], v[28:29], v[61:62]
	s_waitcnt vmcnt(7)
	v_mul_f64 v[97:98], v[16:17], v[65:66]
	v_mul_f64 v[61:62], v[30:31], v[61:62]
	v_mul_f64 v[99:100], v[18:19], v[65:66]
	;; [unrolled: 1-line block ×3, first 2 shown]
	s_waitcnt vmcnt(3)
	v_mul_f64 v[114:115], v[12:13], v[81:82]
	v_mul_f64 v[81:82], v[14:15], v[81:82]
	s_waitcnt vmcnt(2)
	v_mul_f64 v[116:117], v[4:5], v[85:86]
	s_waitcnt vmcnt(1)
	v_mul_f64 v[120:121], v[40:41], v[89:90]
	v_mul_f64 v[118:119], v[6:7], v[85:86]
	v_mul_f64 v[89:90], v[42:43], v[89:90]
	s_waitcnt vmcnt(0)
	v_mul_f64 v[122:123], v[36:37], v[95:96]
	v_mul_f64 v[95:96], v[38:39], v[95:96]
	v_fma_f64 v[65:66], v[18:19], v[63:64], v[97:98]
	v_fma_f64 v[81:82], v[12:13], v[79:80], -v[81:82]
	v_fma_f64 v[97:98], v[6:7], v[83:84], v[116:117]
	v_fma_f64 v[12:13], v[42:43], v[87:88], v[120:121]
	v_mul_f64 v[110:111], v[8:9], v[73:74]
	v_mul_f64 v[112:113], v[32:33], v[77:78]
	;; [unrolled: 1-line block ×3, first 2 shown]
	v_fma_f64 v[30:31], v[30:31], v[59:60], v[91:92]
	v_fma_f64 v[28:29], v[28:29], v[59:60], -v[61:62]
	v_fma_f64 v[61:62], v[16:17], v[63:64], -v[99:100]
	v_fma_f64 v[85:86], v[14:15], v[79:80], v[114:115]
	v_fma_f64 v[91:92], v[4:5], v[83:84], -v[118:119]
	v_fma_f64 v[14:15], v[40:41], v[87:88], -v[89:90]
	v_fma_f64 v[16:17], v[38:39], v[93:94], v[122:123]
	v_fma_f64 v[18:19], v[36:37], v[93:94], -v[95:96]
	v_add_f64 v[99:100], v[97:98], v[12:13]
	v_add_f64 v[93:94], v[97:98], -v[12:13]
	v_mul_f64 v[108:109], v[24:25], v[69:70]
	v_mul_f64 v[69:70], v[26:27], v[69:70]
	;; [unrolled: 1-line block ×3, first 2 shown]
	v_fma_f64 v[53:54], v[22:23], v[55:56], v[53:54]
	v_fma_f64 v[55:56], v[20:21], v[55:56], -v[57:58]
	v_fma_f64 v[79:80], v[10:11], v[71:72], v[110:111]
	v_fma_f64 v[20:21], v[34:35], v[75:76], v[112:113]
	v_fma_f64 v[22:23], v[32:33], v[75:76], -v[77:78]
	v_add_f64 v[83:84], v[91:92], -v[14:15]
	v_add_f64 v[95:96], v[85:86], v[16:17]
	v_add_f64 v[87:88], v[91:92], v[14:15]
	v_add_f64 v[75:76], v[85:86], -v[16:17]
	v_mul_f64 v[4:5], v[99:100], s[4:5]
	v_mul_f64 v[6:7], v[93:94], s[10:11]
	v_fma_f64 v[26:27], v[26:27], v[67:68], v[108:109]
	v_fma_f64 v[24:25], v[24:25], v[67:68], -v[69:70]
	v_fma_f64 v[73:74], v[8:9], v[71:72], -v[73:74]
	v_add_f64 v[67:68], v[81:82], -v[18:19]
	v_add_f64 v[59:60], v[81:82], v[18:19]
	v_add_f64 v[89:90], v[79:80], v[20:21]
	v_add_f64 v[71:72], v[79:80], -v[20:21]
	v_mul_f64 v[8:9], v[95:96], s[14:15]
	v_mul_f64 v[10:11], v[75:76], s[22:23]
	v_fma_f64 v[124:125], v[83:84], s[6:7], v[4:5]
	v_fma_f64 v[126:127], v[87:88], s[4:5], v[6:7]
	;; [unrolled: 1-line block ×3, first 2 shown]
	v_add_f64 v[69:70], v[73:74], -v[22:23]
	v_add_f64 v[57:58], v[73:74], v[22:23]
	v_add_f64 v[77:78], v[65:66], v[26:27]
	v_add_f64 v[42:43], v[65:66], -v[26:27]
	v_mul_f64 v[108:109], v[89:90], s[16:17]
	v_mul_f64 v[110:111], v[71:72], s[20:21]
	v_fma_f64 v[130:131], v[67:68], s[18:19], v[8:9]
	v_fma_f64 v[6:7], v[87:88], s[4:5], -v[6:7]
	v_fma_f64 v[132:133], v[59:60], s[14:15], v[10:11]
	v_fma_f64 v[8:9], v[67:68], s[22:23], v[8:9]
	v_add_f64 v[124:125], v[2:3], v[124:125]
	v_add_f64 v[126:127], v[0:1], v[126:127]
	;; [unrolled: 1-line block ×3, first 2 shown]
	v_add_f64 v[38:39], v[61:62], -v[24:25]
	v_add_f64 v[32:33], v[61:62], v[24:25]
	v_add_f64 v[63:64], v[53:54], v[30:31]
	v_add_f64 v[40:41], v[53:54], -v[30:31]
	v_mul_f64 v[112:113], v[77:78], s[24:25]
	v_mul_f64 v[114:115], v[42:43], s[38:39]
	;; [unrolled: 1-line block ×3, first 2 shown]
	v_fma_f64 v[10:11], v[59:60], s[14:15], -v[10:11]
	v_fma_f64 v[134:135], v[69:70], s[26:27], v[108:109]
	v_fma_f64 v[136:137], v[57:58], s[16:17], v[110:111]
	;; [unrolled: 1-line block ×3, first 2 shown]
	v_add_f64 v[6:7], v[0:1], v[6:7]
	v_add_f64 v[124:125], v[130:131], v[124:125]
	;; [unrolled: 1-line block ×4, first 2 shown]
	v_add_f64 v[34:35], v[55:56], -v[28:29]
	v_add_f64 v[36:37], v[55:56], v[28:29]
	v_mul_f64 v[116:117], v[63:64], s[28:29]
	v_mul_f64 v[118:119], v[40:41], s[34:35]
	;; [unrolled: 1-line block ×3, first 2 shown]
	v_fma_f64 v[110:111], v[57:58], s[16:17], -v[110:111]
	v_fma_f64 v[130:131], v[38:39], s[30:31], v[112:113]
	v_fma_f64 v[8:9], v[32:33], s[24:25], v[114:115]
	;; [unrolled: 1-line block ×3, first 2 shown]
	v_add_f64 v[6:7], v[10:11], v[6:7]
	v_add_f64 v[10:11], v[134:135], v[124:125]
	;; [unrolled: 1-line block ×3, first 2 shown]
	v_fma_f64 v[126:127], v[83:84], s[26:27], v[120:121]
	v_add_f64 v[4:5], v[108:109], v[4:5]
	v_mul_f64 v[122:123], v[95:96], s[28:29]
	v_fma_f64 v[132:133], v[34:35], s[36:37], v[116:117]
	v_fma_f64 v[108:109], v[36:37], s[28:29], v[118:119]
	v_fma_f64 v[114:115], v[32:33], s[24:25], -v[114:115]
	v_add_f64 v[6:7], v[110:111], v[6:7]
	v_add_f64 v[10:11], v[130:131], v[10:11]
	;; [unrolled: 1-line block ×5, first 2 shown]
	v_fma_f64 v[126:127], v[87:88], s[16:17], v[128:129]
	v_mul_f64 v[130:131], v[75:76], s[36:37]
	v_fma_f64 v[116:117], v[34:35], s[34:35], v[116:117]
	v_fma_f64 v[110:111], v[67:68], s[34:35], v[122:123]
	v_mul_f64 v[134:135], v[89:90], s[14:15]
	v_add_f64 v[114:115], v[114:115], v[6:7]
	v_add_f64 v[6:7], v[132:133], v[10:11]
	v_add_f64 v[4:5], v[108:109], v[8:9]
	v_fma_f64 v[8:9], v[36:37], s[28:29], -v[118:119]
	v_add_f64 v[108:109], v[0:1], v[126:127]
	v_fma_f64 v[118:119], v[59:60], s[28:29], v[130:131]
	v_mul_f64 v[126:127], v[71:72], s[18:19]
	v_fma_f64 v[120:121], v[83:84], s[20:21], v[120:121]
	v_add_f64 v[10:11], v[116:117], v[112:113]
	v_fma_f64 v[112:113], v[87:88], s[16:17], -v[128:129]
	v_add_f64 v[110:111], v[110:111], v[124:125]
	v_fma_f64 v[124:125], v[69:70], s[22:23], v[134:135]
	v_mul_f64 v[132:133], v[77:78], s[4:5]
	v_add_f64 v[108:109], v[118:119], v[108:109]
	v_fma_f64 v[116:117], v[57:58], s[14:15], v[126:127]
	v_mul_f64 v[118:119], v[42:43], s[10:11]
	v_fma_f64 v[122:123], v[67:68], s[36:37], v[122:123]
	v_add_f64 v[120:121], v[2:3], v[120:121]
	v_add_f64 v[8:9], v[8:9], v[114:115]
	v_fma_f64 v[114:115], v[59:60], s[28:29], -v[130:131]
	v_add_f64 v[112:113], v[0:1], v[112:113]
	v_add_f64 v[110:111], v[124:125], v[110:111]
	v_fma_f64 v[124:125], v[38:39], s[6:7], v[132:133]
	v_add_f64 v[108:109], v[116:117], v[108:109]
	v_fma_f64 v[116:117], v[32:33], s[4:5], v[118:119]
	;; [unrolled: 2-line block ×3, first 2 shown]
	v_mul_f64 v[128:129], v[63:64], s[24:25]
	v_add_f64 v[112:113], v[114:115], v[112:113]
	v_fma_f64 v[114:115], v[57:58], s[14:15], -v[126:127]
	v_mul_f64 v[126:127], v[40:41], s[38:39]
	v_mul_f64 v[130:131], v[99:100], s[28:29]
	v_add_f64 v[110:111], v[124:125], v[110:111]
	v_add_f64 v[108:109], v[116:117], v[108:109]
	;; [unrolled: 1-line block ×3, first 2 shown]
	v_mul_f64 v[120:121], v[93:94], s[34:35]
	v_fma_f64 v[122:123], v[34:35], s[30:31], v[128:129]
	v_add_f64 v[112:113], v[114:115], v[112:113]
	v_fma_f64 v[114:115], v[36:37], s[24:25], v[126:127]
	v_fma_f64 v[124:125], v[83:84], s[36:37], v[130:131]
	v_mul_f64 v[134:135], v[95:96], s[4:5]
	v_fma_f64 v[132:133], v[38:39], s[10:11], v[132:133]
	v_fma_f64 v[118:119], v[32:33], s[4:5], -v[118:119]
	v_fma_f64 v[136:137], v[87:88], s[28:29], v[120:121]
	v_mul_f64 v[138:139], v[75:76], s[6:7]
	v_add_f64 v[110:111], v[122:123], v[110:111]
	v_add_f64 v[108:109], v[114:115], v[108:109]
	;; [unrolled: 1-line block ×3, first 2 shown]
	v_fma_f64 v[122:123], v[67:68], s[10:11], v[134:135]
	v_mul_f64 v[124:125], v[89:90], s[24:25]
	v_add_f64 v[116:117], v[132:133], v[116:117]
	v_fma_f64 v[128:129], v[34:35], s[38:39], v[128:129]
	v_add_f64 v[132:133], v[0:1], v[136:137]
	v_fma_f64 v[136:137], v[59:60], s[4:5], v[138:139]
	v_mul_f64 v[140:141], v[71:72], s[38:39]
	v_add_f64 v[112:113], v[118:119], v[112:113]
	v_add_f64 v[118:119], v[122:123], v[114:115]
	v_fma_f64 v[122:123], v[69:70], s[30:31], v[124:125]
	v_mul_f64 v[142:143], v[77:78], s[14:15]
	v_add_f64 v[114:115], v[128:129], v[116:117]
	v_fma_f64 v[116:117], v[83:84], s[34:35], v[130:131]
	v_fma_f64 v[126:127], v[36:37], s[24:25], -v[126:127]
	v_add_f64 v[132:133], v[136:137], v[132:133]
	v_fma_f64 v[136:137], v[57:58], s[24:25], v[140:141]
	v_mul_f64 v[128:129], v[42:43], s[18:19]
	v_add_f64 v[118:119], v[122:123], v[118:119]
	v_fma_f64 v[120:121], v[87:88], s[28:29], -v[120:121]
	v_fma_f64 v[122:123], v[38:39], s[22:23], v[142:143]
	v_mul_f64 v[130:131], v[63:64], s[16:17]
	v_fma_f64 v[134:135], v[67:68], s[6:7], v[134:135]
	v_add_f64 v[116:117], v[2:3], v[116:117]
	v_add_f64 v[132:133], v[136:137], v[132:133]
	v_fma_f64 v[136:137], v[32:33], s[14:15], v[128:129]
	v_fma_f64 v[138:139], v[59:60], s[4:5], -v[138:139]
	v_add_f64 v[120:121], v[0:1], v[120:121]
	v_add_f64 v[118:119], v[122:123], v[118:119]
	v_fma_f64 v[122:123], v[34:35], s[26:27], v[130:131]
	v_add_f64 v[112:113], v[126:127], v[112:113]
	v_mul_f64 v[126:127], v[99:100], s[24:25]
	v_add_f64 v[116:117], v[134:135], v[116:117]
	v_fma_f64 v[124:125], v[69:70], s[38:39], v[124:125]
	v_add_f64 v[132:133], v[136:137], v[132:133]
	v_add_f64 v[120:121], v[138:139], v[120:121]
	v_fma_f64 v[134:135], v[57:58], s[24:25], -v[140:141]
	v_add_f64 v[118:119], v[122:123], v[118:119]
	v_mul_f64 v[122:123], v[40:41], s[20:21]
	v_fma_f64 v[136:137], v[83:84], s[38:39], v[126:127]
	v_mul_f64 v[138:139], v[95:96], s[16:17]
	v_add_f64 v[116:117], v[124:125], v[116:117]
	v_mul_f64 v[124:125], v[93:94], s[30:31]
	v_fma_f64 v[140:141], v[38:39], s[18:19], v[142:143]
	v_add_f64 v[120:121], v[134:135], v[120:121]
	v_fma_f64 v[128:129], v[32:33], s[14:15], -v[128:129]
	v_fma_f64 v[134:135], v[36:37], s[16:17], v[122:123]
	v_add_f64 v[136:137], v[2:3], v[136:137]
	v_fma_f64 v[142:143], v[67:68], s[26:27], v[138:139]
	v_mul_f64 v[144:145], v[89:90], s[4:5]
	v_fma_f64 v[146:147], v[87:88], s[24:25], v[124:125]
	v_mul_f64 v[148:149], v[75:76], s[20:21]
	v_add_f64 v[140:141], v[140:141], v[116:117]
	v_add_f64 v[120:121], v[128:129], v[120:121]
	v_fma_f64 v[128:129], v[34:35], s[20:21], v[130:131]
	v_fma_f64 v[130:131], v[36:37], s[16:17], -v[122:123]
	v_add_f64 v[136:137], v[142:143], v[136:137]
	v_fma_f64 v[142:143], v[69:70], s[10:11], v[144:145]
	v_add_f64 v[146:147], v[0:1], v[146:147]
	v_fma_f64 v[150:151], v[59:60], s[16:17], v[148:149]
	v_add_f64 v[116:117], v[134:135], v[132:133]
	v_mul_f64 v[132:133], v[71:72], s[6:7]
	v_add_f64 v[97:98], v[2:3], v[97:98]
	v_add_f64 v[91:92], v[0:1], v[91:92]
	;; [unrolled: 1-line block ×5, first 2 shown]
	v_fma_f64 v[126:127], v[83:84], s[30:31], v[126:127]
	v_add_f64 v[134:135], v[150:151], v[146:147]
	v_fma_f64 v[124:125], v[87:88], s[24:25], -v[124:125]
	v_fma_f64 v[136:137], v[57:58], s[4:5], v[132:133]
	v_mul_f64 v[140:141], v[42:43], s[36:37]
	v_add_f64 v[85:86], v[97:98], v[85:86]
	v_add_f64 v[81:82], v[91:92], v[81:82]
	v_fma_f64 v[138:139], v[67:68], s[20:21], v[138:139]
	v_add_f64 v[126:127], v[2:3], v[126:127]
	v_fma_f64 v[148:149], v[59:60], s[16:17], -v[148:149]
	v_add_f64 v[124:125], v[0:1], v[124:125]
	v_add_f64 v[134:135], v[136:137], v[134:135]
	v_fma_f64 v[136:137], v[32:33], s[28:29], v[140:141]
	v_add_f64 v[79:80], v[85:86], v[79:80]
	v_add_f64 v[73:74], v[81:82], v[73:74]
	v_mul_f64 v[128:129], v[77:78], s[28:29]
	v_add_f64 v[126:127], v[138:139], v[126:127]
	v_fma_f64 v[138:139], v[69:70], s[6:7], v[144:145]
	v_add_f64 v[124:125], v[148:149], v[124:125]
	v_fma_f64 v[132:133], v[57:58], s[4:5], -v[132:133]
	v_add_f64 v[134:135], v[136:137], v[134:135]
	v_mul_f64 v[136:137], v[99:100], s[14:15]
	v_add_f64 v[65:66], v[79:80], v[65:66]
	v_add_f64 v[61:62], v[73:74], v[61:62]
	v_mul_f64 v[93:94], v[93:94], s[18:19]
	v_fma_f64 v[142:143], v[38:39], s[34:35], v[128:129]
	v_add_f64 v[126:127], v[138:139], v[126:127]
	v_fma_f64 v[128:129], v[38:39], s[36:37], v[128:129]
	v_add_f64 v[124:125], v[132:133], v[124:125]
	v_fma_f64 v[132:133], v[83:84], s[22:23], v[136:137]
	v_mul_f64 v[95:96], v[95:96], s[24:25]
	v_add_f64 v[53:54], v[65:66], v[53:54]
	v_add_f64 v[55:56], v[61:62], v[55:56]
	v_mul_f64 v[85:86], v[89:90], s[28:29]
	v_fma_f64 v[83:84], v[83:84], s[18:19], v[136:137]
	v_fma_f64 v[89:90], v[87:88], s[14:15], v[93:94]
	v_fma_f64 v[87:88], v[87:88], s[14:15], -v[93:94]
	v_mul_f64 v[75:76], v[75:76], s[30:31]
	v_add_f64 v[126:127], v[128:129], v[126:127]
	v_add_f64 v[91:92], v[2:3], v[132:133]
	v_fma_f64 v[128:129], v[67:68], s[38:39], v[95:96]
	v_add_f64 v[30:31], v[53:54], v[30:31]
	v_add_f64 v[28:29], v[55:56], v[28:29]
	;; [unrolled: 1-line block ×3, first 2 shown]
	v_mul_f64 v[71:72], v[71:72], s[34:35]
	v_add_f64 v[2:3], v[2:3], v[83:84]
	v_fma_f64 v[61:62], v[67:68], s[30:31], v[95:96]
	v_add_f64 v[0:1], v[0:1], v[87:88]
	v_fma_f64 v[53:54], v[59:60], s[24:25], -v[75:76]
	v_mul_f64 v[146:147], v[63:64], s[14:15]
	v_add_f64 v[81:82], v[128:129], v[91:92]
	v_fma_f64 v[79:80], v[69:70], s[36:37], v[85:86]
	v_mul_f64 v[77:78], v[77:78], s[16:17]
	v_fma_f64 v[89:90], v[59:60], s[24:25], v[75:76]
	v_add_f64 v[26:27], v[30:31], v[26:27]
	v_add_f64 v[24:25], v[28:29], v[24:25]
	v_fma_f64 v[67:68], v[57:58], s[28:29], v[71:72]
	v_fma_f64 v[69:70], v[69:70], s[34:35], v[85:86]
	v_add_f64 v[2:3], v[61:62], v[2:3]
	v_fma_f64 v[57:58], v[57:58], s[28:29], -v[71:72]
	v_mul_f64 v[42:43], v[42:43], s[20:21]
	v_add_f64 v[0:1], v[53:54], v[0:1]
	v_add_f64 v[130:131], v[142:143], v[130:131]
	v_fma_f64 v[142:143], v[34:35], s[18:19], v[146:147]
	v_mul_f64 v[150:151], v[40:41], s[22:23]
	v_add_f64 v[79:80], v[79:80], v[81:82]
	v_fma_f64 v[81:82], v[38:39], s[26:27], v[77:78]
	v_add_f64 v[65:66], v[89:90], v[73:74]
	v_mul_f64 v[59:60], v[63:64], s[4:5]
	v_fma_f64 v[28:29], v[38:39], s[20:21], v[77:78]
	v_mul_f64 v[38:39], v[40:41], s[10:11]
	v_add_f64 v[20:21], v[26:27], v[20:21]
	v_add_f64 v[22:23], v[24:25], v[22:23]
	;; [unrolled: 1-line block ×3, first 2 shown]
	v_fma_f64 v[40:41], v[32:33], s[16:17], -v[42:43]
	v_add_f64 v[0:1], v[57:58], v[0:1]
	v_fma_f64 v[138:139], v[32:33], s[28:29], -v[140:141]
	v_add_f64 v[99:100], v[142:143], v[130:131]
	v_fma_f64 v[130:131], v[36:37], s[14:15], v[150:151]
	v_fma_f64 v[91:92], v[34:35], s[22:23], v[146:147]
	v_fma_f64 v[93:94], v[36:37], s[14:15], -v[150:151]
	v_add_f64 v[55:56], v[67:68], v[65:66]
	v_fma_f64 v[30:31], v[34:35], s[6:7], v[59:60]
	v_fma_f64 v[24:25], v[32:33], s[16:17], v[42:43]
	;; [unrolled: 1-line block ×4, first 2 shown]
	v_fma_f64 v[34:35], v[36:37], s[4:5], -v[38:39]
	v_add_f64 v[36:37], v[20:21], v[16:17]
	v_add_f64 v[18:19], v[22:23], v[18:19]
	;; [unrolled: 1-line block ×13, first 2 shown]
	v_lshrrev_b32_e32 v12, 4, v44
	v_mul_u32_u24_e32 v12, 0xb0, v12
	v_or_b32_e32 v12, v12, v45
	v_lshlrev_b32_e32 v12, 4, v12
	v_add3_u32 v12, 0, v12, v49
	v_add_f64 v[97:98], v[130:131], v[134:135]
	v_add_f64 v[16:17], v[30:31], v[73:74]
	;; [unrolled: 1-line block ×3, first 2 shown]
	ds_write_b128 v12, v[22:25]
	ds_write_b128 v12, v[18:21] offset:256
	ds_write_b128 v12, v[0:3] offset:512
	;; [unrolled: 1-line block ×10, first 2 shown]
.LBB0_17:
	s_or_b64 exec, exec, s[2:3]
	v_mov_b32_e32 v45, 0
	v_lshlrev_b64 v[8:9], 4, v[44:45]
	v_mov_b32_e32 v53, v45
	v_mov_b32_e32 v61, s9
	v_add_co_u32_e32 v57, vcc, s8, v8
	v_lshlrev_b64 v[10:11], 4, v[52:53]
	v_addc_co_u32_e32 v58, vcc, v61, v9, vcc
	s_waitcnt lgkmcnt(0)
	s_barrier
	global_load_dwordx4 v[0:3], v[57:58], off offset:2784
	v_add_co_u32_e32 v59, vcc, s8, v10
	v_addc_co_u32_e32 v60, vcc, v61, v11, vcc
	global_load_dwordx4 v[4:7], v[59:60], off offset:2784
	s_movk_i32 s2, 0x1000
	v_mov_b32_e32 v51, v45
	v_lshlrev_b64 v[14:15], 4, v[50:51]
	v_add_co_u32_e32 v57, vcc, s2, v57
	v_mov_b32_e32 v49, v45
	v_addc_co_u32_e32 v58, vcc, 0, v58, vcc
	v_lshlrev_b64 v[12:13], 4, v[48:49]
	v_add_co_u32_e32 v45, vcc, s8, v14
	v_addc_co_u32_e32 v49, vcc, v61, v15, vcc
	v_add_co_u32_e32 v51, vcc, s8, v12
	ds_read_b128 v[16:19], v101
	ds_read_b128 v[20:23], v104 offset:5632
	ds_read_b128 v[24:27], v104 offset:7040
	;; [unrolled: 1-line block ×3, first 2 shown]
	ds_read_b128 v[32:35], v106
	ds_read_b128 v[36:39], v105
	;; [unrolled: 1-line block ×3, first 2 shown]
	ds_read_b128 v[53:56], v104 offset:9856
	v_addc_co_u32_e32 v73, vcc, v61, v13, vcc
	v_add_co_u32_e32 v59, vcc, s2, v59
	v_addc_co_u32_e32 v60, vcc, 0, v60, vcc
	s_waitcnt vmcnt(0) lgkmcnt(0)
	s_barrier
	s_add_u32 s4, s8, 0x2be0
	s_addc_u32 s5, s9, 0
	v_mul_f64 v[61:62], v[22:23], v[2:3]
	v_mul_f64 v[63:64], v[20:21], v[2:3]
	;; [unrolled: 1-line block ×8, first 2 shown]
	v_fma_f64 v[20:21], v[20:21], v[0:1], -v[61:62]
	v_fma_f64 v[22:23], v[22:23], v[0:1], v[63:64]
	v_fma_f64 v[28:29], v[28:29], v[0:1], -v[65:66]
	v_fma_f64 v[30:31], v[30:31], v[0:1], v[2:3]
	;; [unrolled: 2-line block ×4, first 2 shown]
	v_add_f64 v[0:1], v[16:17], -v[20:21]
	v_add_f64 v[2:3], v[18:19], -v[22:23]
	;; [unrolled: 1-line block ×8, first 2 shown]
	v_fma_f64 v[16:17], v[16:17], 2.0, -v[0:1]
	v_fma_f64 v[18:19], v[18:19], 2.0, -v[2:3]
	;; [unrolled: 1-line block ×8, first 2 shown]
	v_add_co_u32_e32 v40, vcc, s2, v45
	v_addc_co_u32_e32 v41, vcc, 0, v49, vcc
	ds_write_b128 v104, v[0:3] offset:2816
	ds_write_b128 v104, v[16:19]
	ds_write_b128 v107, v[20:23] offset:2816
	ds_write_b128 v107, v[32:35]
	ds_write_b128 v104, v[28:31] offset:5632
	ds_write_b128 v104, v[4:7] offset:8448
	;; [unrolled: 1-line block ×4, first 2 shown]
	s_waitcnt lgkmcnt(0)
	s_barrier
	global_load_dwordx4 v[0:3], v[57:58], off offset:1504
	global_load_dwordx4 v[4:7], v[59:60], off offset:1504
	;; [unrolled: 1-line block ×3, first 2 shown]
	v_add_co_u32_e32 v20, vcc, s2, v51
	v_addc_co_u32_e32 v21, vcc, 0, v73, vcc
	global_load_dwordx4 v[20:23], v[20:21], off offset:1504
	ds_read_b128 v[24:27], v101
	ds_read_b128 v[28:31], v104 offset:5632
	ds_read_b128 v[32:35], v104 offset:7040
	;; [unrolled: 1-line block ×3, first 2 shown]
	ds_read_b128 v[40:43], v106
	ds_read_b128 v[53:56], v105
	;; [unrolled: 1-line block ×3, first 2 shown]
	ds_read_b128 v[61:64], v104 offset:9856
	s_waitcnt vmcnt(0) lgkmcnt(0)
	s_barrier
	v_cmp_ne_u32_e32 vcc, 0, v44
	v_mul_f64 v[65:66], v[30:31], v[2:3]
	v_mul_f64 v[2:3], v[28:29], v[2:3]
	;; [unrolled: 1-line block ×8, first 2 shown]
	v_fma_f64 v[28:29], v[28:29], v[0:1], -v[65:66]
	v_fma_f64 v[2:3], v[30:31], v[0:1], v[2:3]
	v_fma_f64 v[30:31], v[32:33], v[4:5], -v[67:68]
	v_fma_f64 v[6:7], v[34:35], v[4:5], v[6:7]
	;; [unrolled: 2-line block ×4, first 2 shown]
	v_add_f64 v[0:1], v[24:25], -v[28:29]
	v_add_f64 v[2:3], v[26:27], -v[2:3]
	;; [unrolled: 1-line block ×8, first 2 shown]
	v_fma_f64 v[24:25], v[24:25], 2.0, -v[0:1]
	v_fma_f64 v[26:27], v[26:27], 2.0, -v[2:3]
	;; [unrolled: 1-line block ×8, first 2 shown]
	ds_write_b128 v104, v[0:3] offset:5632
	ds_write_b128 v104, v[24:27]
	ds_write_b128 v107, v[28:31]
	ds_write_b128 v107, v[4:7] offset:5632
	ds_write_b128 v106, v[32:35]
	ds_write_b128 v106, v[16:19] offset:5632
	;; [unrolled: 2-line block ×3, first 2 shown]
	s_waitcnt lgkmcnt(0)
	s_barrier
	ds_read_b128 v[4:7], v101
	v_sub_u32_e32 v20, v102, v103
                                        ; implicit-def: $vgpr0_vgpr1
                                        ; implicit-def: $vgpr16_vgpr17
                                        ; implicit-def: $vgpr18_vgpr19
	s_and_saveexec_b64 s[2:3], vcc
	s_xor_b64 s[2:3], exec, s[2:3]
	s_cbranch_execz .LBB0_19
; %bb.18:
	v_mov_b32_e32 v1, s5
	v_add_co_u32_e32 v0, vcc, s4, v8
	v_addc_co_u32_e32 v1, vcc, v1, v9, vcc
	global_load_dwordx4 v[21:24], v[0:1], off
	ds_read_b128 v[0:3], v20 offset:11264
	s_waitcnt lgkmcnt(0)
	v_add_f64 v[16:17], v[4:5], -v[0:1]
	v_add_f64 v[18:19], v[6:7], v[2:3]
	v_add_f64 v[2:3], v[6:7], -v[2:3]
	v_add_f64 v[0:1], v[4:5], v[0:1]
	v_mul_f64 v[6:7], v[16:17], 0.5
	v_mul_f64 v[4:5], v[18:19], 0.5
	;; [unrolled: 1-line block ×3, first 2 shown]
	s_waitcnt vmcnt(0)
	v_mul_f64 v[16:17], v[6:7], v[23:24]
	v_fma_f64 v[18:19], v[4:5], v[23:24], v[2:3]
	v_fma_f64 v[2:3], v[4:5], v[23:24], -v[2:3]
	v_fma_f64 v[25:26], v[0:1], 0.5, v[16:17]
	v_fma_f64 v[0:1], v[0:1], 0.5, -v[16:17]
	v_fma_f64 v[18:19], -v[21:22], v[6:7], v[18:19]
	v_fma_f64 v[2:3], -v[21:22], v[6:7], v[2:3]
	v_fma_f64 v[16:17], v[4:5], v[21:22], v[25:26]
	v_fma_f64 v[0:1], -v[4:5], v[21:22], v[0:1]
                                        ; implicit-def: $vgpr4_vgpr5
.LBB0_19:
	s_andn2_saveexec_b64 s[2:3], s[2:3]
	s_cbranch_execz .LBB0_21
; %bb.20:
	s_waitcnt lgkmcnt(0)
	v_add_f64 v[16:17], v[4:5], v[6:7]
	ds_read_b64 v[2:3], v102 offset:5640
	v_add_f64 v[0:1], v[4:5], -v[6:7]
	v_mov_b32_e32 v18, 0
	v_mov_b32_e32 v19, 0
	s_waitcnt lgkmcnt(0)
	v_xor_b32_e32 v3, 0x80000000, v3
	ds_write_b64 v102, v[2:3] offset:5640
	v_mov_b32_e32 v2, v18
	v_mov_b32_e32 v3, v19
.LBB0_21:
	s_or_b64 exec, exec, s[2:3]
	s_waitcnt lgkmcnt(0)
	v_mov_b32_e32 v5, s5
	v_add_co_u32_e32 v4, vcc, s4, v10
	v_addc_co_u32_e32 v5, vcc, v5, v11, vcc
	global_load_dwordx4 v[4:7], v[4:5], off
	v_mov_b32_e32 v11, s5
	v_add_co_u32_e32 v10, vcc, s4, v14
	v_addc_co_u32_e32 v11, vcc, v11, v15, vcc
	global_load_dwordx4 v[21:24], v[10:11], off
	ds_write2_b64 v101, v[16:17], v[18:19] offset1:1
	ds_write_b128 v20, v[0:3] offset:11264
	v_lshl_add_u32 v27, v52, 4, v102
	ds_read_b128 v[0:3], v27
	ds_read_b128 v[14:17], v20 offset:9856
	v_mov_b32_e32 v28, s5
	s_waitcnt lgkmcnt(0)
	v_add_f64 v[10:11], v[0:1], -v[14:15]
	v_add_f64 v[18:19], v[2:3], v[16:17]
	v_add_f64 v[2:3], v[2:3], -v[16:17]
	v_add_f64 v[0:1], v[0:1], v[14:15]
	v_mul_f64 v[10:11], v[10:11], 0.5
	v_mul_f64 v[16:17], v[18:19], 0.5
	;; [unrolled: 1-line block ×3, first 2 shown]
	s_waitcnt vmcnt(1)
	v_mul_f64 v[14:15], v[10:11], v[6:7]
	v_fma_f64 v[18:19], v[16:17], v[6:7], v[2:3]
	v_fma_f64 v[6:7], v[16:17], v[6:7], -v[2:3]
	v_fma_f64 v[25:26], v[0:1], 0.5, v[14:15]
	v_fma_f64 v[14:15], v[0:1], 0.5, -v[14:15]
	v_add_co_u32_e32 v0, vcc, s4, v12
	v_addc_co_u32_e32 v1, vcc, v28, v13, vcc
	global_load_dwordx4 v[0:3], v[0:1], off
	v_fma_f64 v[12:13], -v[4:5], v[10:11], v[18:19]
	v_fma_f64 v[6:7], -v[4:5], v[10:11], v[6:7]
	v_fma_f64 v[10:11], v[16:17], v[4:5], v[25:26]
	v_fma_f64 v[4:5], -v[16:17], v[4:5], v[14:15]
	v_lshl_add_u32 v25, v50, 4, v102
	ds_write2_b64 v27, v[10:11], v[12:13] offset1:1
	ds_write_b128 v20, v[4:7] offset:9856
	ds_read_b128 v[4:7], v25
	ds_read_b128 v[10:13], v20 offset:8448
	s_waitcnt lgkmcnt(0)
	v_add_f64 v[14:15], v[4:5], -v[10:11]
	v_add_f64 v[16:17], v[6:7], v[12:13]
	v_add_f64 v[6:7], v[6:7], -v[12:13]
	v_add_f64 v[4:5], v[4:5], v[10:11]
	v_mul_f64 v[12:13], v[14:15], 0.5
	v_mul_f64 v[14:15], v[16:17], 0.5
	;; [unrolled: 1-line block ×3, first 2 shown]
	s_waitcnt vmcnt(1)
	v_mul_f64 v[10:11], v[12:13], v[23:24]
	v_fma_f64 v[16:17], v[14:15], v[23:24], v[6:7]
	v_fma_f64 v[6:7], v[14:15], v[23:24], -v[6:7]
	v_fma_f64 v[18:19], v[4:5], 0.5, v[10:11]
	v_fma_f64 v[4:5], v[4:5], 0.5, -v[10:11]
	v_fma_f64 v[10:11], -v[21:22], v[12:13], v[16:17]
	v_fma_f64 v[6:7], -v[21:22], v[12:13], v[6:7]
	v_fma_f64 v[12:13], v[14:15], v[21:22], v[18:19]
	v_fma_f64 v[4:5], -v[14:15], v[21:22], v[4:5]
	v_lshl_add_u32 v18, v48, 4, v102
	ds_write2_b64 v25, v[12:13], v[10:11] offset1:1
	ds_write_b128 v20, v[4:7] offset:8448
	ds_read_b128 v[4:7], v18
	ds_read_b128 v[10:13], v20 offset:7040
	s_waitcnt lgkmcnt(0)
	v_add_f64 v[14:15], v[4:5], -v[10:11]
	v_add_f64 v[16:17], v[6:7], v[12:13]
	v_add_f64 v[6:7], v[6:7], -v[12:13]
	v_add_f64 v[4:5], v[4:5], v[10:11]
	v_mul_f64 v[12:13], v[14:15], 0.5
	v_mul_f64 v[14:15], v[16:17], 0.5
	;; [unrolled: 1-line block ×3, first 2 shown]
	s_waitcnt vmcnt(0)
	v_mul_f64 v[10:11], v[12:13], v[2:3]
	v_fma_f64 v[16:17], v[14:15], v[2:3], v[6:7]
	v_fma_f64 v[2:3], v[14:15], v[2:3], -v[6:7]
	v_fma_f64 v[6:7], v[4:5], 0.5, v[10:11]
	v_fma_f64 v[4:5], v[4:5], 0.5, -v[10:11]
	v_fma_f64 v[10:11], -v[0:1], v[12:13], v[16:17]
	v_fma_f64 v[2:3], -v[0:1], v[12:13], v[2:3]
	v_fma_f64 v[6:7], v[14:15], v[0:1], v[6:7]
	v_fma_f64 v[0:1], -v[14:15], v[0:1], v[4:5]
	ds_write2_b64 v18, v[6:7], v[10:11] offset1:1
	ds_write_b128 v20, v[0:3] offset:7040
	s_waitcnt lgkmcnt(0)
	s_barrier
	s_and_saveexec_b64 s[2:3], s[0:1]
	s_cbranch_execz .LBB0_24
; %bb.22:
	ds_read_b128 v[2:5], v101
	ds_read_b128 v[10:13], v101 offset:1408
	ds_read_b128 v[14:17], v101 offset:2816
	v_mov_b32_e32 v0, s13
	v_add_co_u32_e32 v1, vcc, s12, v46
	v_addc_co_u32_e32 v0, vcc, v0, v47, vcc
	v_add_co_u32_e32 v18, vcc, v1, v8
	v_addc_co_u32_e32 v19, vcc, v0, v9, vcc
	s_waitcnt lgkmcnt(2)
	global_store_dwordx4 v[18:19], v[2:5], off
	s_waitcnt lgkmcnt(1)
	global_store_dwordx4 v[18:19], v[10:13], off offset:1408
	s_waitcnt lgkmcnt(0)
	global_store_dwordx4 v[18:19], v[14:17], off offset:2816
	ds_read_b128 v[2:5], v101 offset:4224
	ds_read_b128 v[6:9], v101 offset:5632
	;; [unrolled: 1-line block ×3, first 2 shown]
	v_add_co_u32_e32 v14, vcc, 0x1000, v18
	v_addc_co_u32_e32 v15, vcc, 0, v19, vcc
	s_waitcnt lgkmcnt(2)
	global_store_dwordx4 v[14:15], v[2:5], off offset:128
	s_waitcnt lgkmcnt(1)
	global_store_dwordx4 v[14:15], v[6:9], off offset:1536
	;; [unrolled: 2-line block ×3, first 2 shown]
	ds_read_b128 v[2:5], v101 offset:8448
	ds_read_b128 v[6:9], v101 offset:9856
	v_add_co_u32_e32 v10, vcc, 0x2000, v18
	v_addc_co_u32_e32 v11, vcc, 0, v19, vcc
	s_movk_i32 s0, 0x57
	v_cmp_eq_u32_e32 vcc, s0, v44
	s_waitcnt lgkmcnt(1)
	global_store_dwordx4 v[10:11], v[2:5], off offset:256
	s_waitcnt lgkmcnt(0)
	global_store_dwordx4 v[10:11], v[6:9], off offset:1664
	s_and_b64 exec, exec, vcc
	s_cbranch_execz .LBB0_24
; %bb.23:
	ds_read_b128 v[2:5], v101 offset:9872
	v_add_co_u32_e32 v6, vcc, 0x2000, v1
	v_addc_co_u32_e32 v7, vcc, 0, v0, vcc
	s_waitcnt lgkmcnt(0)
	global_store_dwordx4 v[6:7], v[2:5], off offset:3072
.LBB0_24:
	s_endpgm
	.section	.rodata,"a",@progbits
	.p2align	6, 0x0
	.amdhsa_kernel fft_rtc_fwd_len704_factors_2_2_2_2_11_2_2_wgs_176_tpt_88_halfLds_dp_ip_CI_unitstride_sbrr_R2C_dirReg
		.amdhsa_group_segment_fixed_size 0
		.amdhsa_private_segment_fixed_size 0
		.amdhsa_kernarg_size 88
		.amdhsa_user_sgpr_count 6
		.amdhsa_user_sgpr_private_segment_buffer 1
		.amdhsa_user_sgpr_dispatch_ptr 0
		.amdhsa_user_sgpr_queue_ptr 0
		.amdhsa_user_sgpr_kernarg_segment_ptr 1
		.amdhsa_user_sgpr_dispatch_id 0
		.amdhsa_user_sgpr_flat_scratch_init 0
		.amdhsa_user_sgpr_private_segment_size 0
		.amdhsa_uses_dynamic_stack 0
		.amdhsa_system_sgpr_private_segment_wavefront_offset 0
		.amdhsa_system_sgpr_workgroup_id_x 1
		.amdhsa_system_sgpr_workgroup_id_y 0
		.amdhsa_system_sgpr_workgroup_id_z 0
		.amdhsa_system_sgpr_workgroup_info 0
		.amdhsa_system_vgpr_workitem_id 0
		.amdhsa_next_free_vgpr 152
		.amdhsa_next_free_sgpr 40
		.amdhsa_reserve_vcc 1
		.amdhsa_reserve_flat_scratch 0
		.amdhsa_float_round_mode_32 0
		.amdhsa_float_round_mode_16_64 0
		.amdhsa_float_denorm_mode_32 3
		.amdhsa_float_denorm_mode_16_64 3
		.amdhsa_dx10_clamp 1
		.amdhsa_ieee_mode 1
		.amdhsa_fp16_overflow 0
		.amdhsa_exception_fp_ieee_invalid_op 0
		.amdhsa_exception_fp_denorm_src 0
		.amdhsa_exception_fp_ieee_div_zero 0
		.amdhsa_exception_fp_ieee_overflow 0
		.amdhsa_exception_fp_ieee_underflow 0
		.amdhsa_exception_fp_ieee_inexact 0
		.amdhsa_exception_int_div_zero 0
	.end_amdhsa_kernel
	.text
.Lfunc_end0:
	.size	fft_rtc_fwd_len704_factors_2_2_2_2_11_2_2_wgs_176_tpt_88_halfLds_dp_ip_CI_unitstride_sbrr_R2C_dirReg, .Lfunc_end0-fft_rtc_fwd_len704_factors_2_2_2_2_11_2_2_wgs_176_tpt_88_halfLds_dp_ip_CI_unitstride_sbrr_R2C_dirReg
                                        ; -- End function
	.section	.AMDGPU.csdata,"",@progbits
; Kernel info:
; codeLenInByte = 8676
; NumSgprs: 44
; NumVgprs: 152
; ScratchSize: 0
; MemoryBound: 0
; FloatMode: 240
; IeeeMode: 1
; LDSByteSize: 0 bytes/workgroup (compile time only)
; SGPRBlocks: 5
; VGPRBlocks: 37
; NumSGPRsForWavesPerEU: 44
; NumVGPRsForWavesPerEU: 152
; Occupancy: 1
; WaveLimiterHint : 1
; COMPUTE_PGM_RSRC2:SCRATCH_EN: 0
; COMPUTE_PGM_RSRC2:USER_SGPR: 6
; COMPUTE_PGM_RSRC2:TRAP_HANDLER: 0
; COMPUTE_PGM_RSRC2:TGID_X_EN: 1
; COMPUTE_PGM_RSRC2:TGID_Y_EN: 0
; COMPUTE_PGM_RSRC2:TGID_Z_EN: 0
; COMPUTE_PGM_RSRC2:TIDIG_COMP_CNT: 0
	.type	__hip_cuid_bc0e734a6672213d,@object ; @__hip_cuid_bc0e734a6672213d
	.section	.bss,"aw",@nobits
	.globl	__hip_cuid_bc0e734a6672213d
__hip_cuid_bc0e734a6672213d:
	.byte	0                               ; 0x0
	.size	__hip_cuid_bc0e734a6672213d, 1

	.ident	"AMD clang version 19.0.0git (https://github.com/RadeonOpenCompute/llvm-project roc-6.4.0 25133 c7fe45cf4b819c5991fe208aaa96edf142730f1d)"
	.section	".note.GNU-stack","",@progbits
	.addrsig
	.addrsig_sym __hip_cuid_bc0e734a6672213d
	.amdgpu_metadata
---
amdhsa.kernels:
  - .args:
      - .actual_access:  read_only
        .address_space:  global
        .offset:         0
        .size:           8
        .value_kind:     global_buffer
      - .offset:         8
        .size:           8
        .value_kind:     by_value
      - .actual_access:  read_only
        .address_space:  global
        .offset:         16
        .size:           8
        .value_kind:     global_buffer
      - .actual_access:  read_only
        .address_space:  global
        .offset:         24
        .size:           8
        .value_kind:     global_buffer
      - .offset:         32
        .size:           8
        .value_kind:     by_value
      - .actual_access:  read_only
        .address_space:  global
        .offset:         40
        .size:           8
        .value_kind:     global_buffer
      - .actual_access:  read_only
        .address_space:  global
        .offset:         48
        .size:           8
        .value_kind:     global_buffer
      - .offset:         56
        .size:           4
        .value_kind:     by_value
      - .actual_access:  read_only
        .address_space:  global
        .offset:         64
        .size:           8
        .value_kind:     global_buffer
      - .actual_access:  read_only
        .address_space:  global
        .offset:         72
        .size:           8
        .value_kind:     global_buffer
      - .address_space:  global
        .offset:         80
        .size:           8
        .value_kind:     global_buffer
    .group_segment_fixed_size: 0
    .kernarg_segment_align: 8
    .kernarg_segment_size: 88
    .language:       OpenCL C
    .language_version:
      - 2
      - 0
    .max_flat_workgroup_size: 176
    .name:           fft_rtc_fwd_len704_factors_2_2_2_2_11_2_2_wgs_176_tpt_88_halfLds_dp_ip_CI_unitstride_sbrr_R2C_dirReg
    .private_segment_fixed_size: 0
    .sgpr_count:     44
    .sgpr_spill_count: 0
    .symbol:         fft_rtc_fwd_len704_factors_2_2_2_2_11_2_2_wgs_176_tpt_88_halfLds_dp_ip_CI_unitstride_sbrr_R2C_dirReg.kd
    .uniform_work_group_size: 1
    .uses_dynamic_stack: false
    .vgpr_count:     152
    .vgpr_spill_count: 0
    .wavefront_size: 64
amdhsa.target:   amdgcn-amd-amdhsa--gfx906
amdhsa.version:
  - 1
  - 2
...

	.end_amdgpu_metadata
